;; amdgpu-corpus repo=zjin-lcf/HeCBench kind=compiled arch=gfx1100 opt=O3
	.text
	.amdgcn_target "amdgcn-amd-amdhsa--gfx1100"
	.amdhsa_code_object_version 6
	.protected	_Z7presentiiPKhS0_PhS0_S0_S0_S0_S0_ ; -- Begin function _Z7presentiiPKhS0_PhS0_S0_S0_S0_S0_
	.globl	_Z7presentiiPKhS0_PhS0_S0_S0_S0_S0_
	.p2align	8
	.type	_Z7presentiiPKhS0_PhS0_S0_S0_S0_S0_,@function
_Z7presentiiPKhS0_PhS0_S0_S0_S0_S0_:    ; @_Z7presentiiPKhS0_PhS0_S0_S0_S0_S0_
; %bb.0:
	s_clause 0x1
	s_load_b32 s2, s[0:1], 0x54
	s_load_b64 s[12:13], s[0:1], 0x0
	s_waitcnt lgkmcnt(0)
	s_and_b32 s2, s2, 0xffff
	s_delay_alu instid0(SALU_CYCLE_1) | instskip(SKIP_1) | instid1(VALU_DEP_1)
	v_mad_u64_u32 v[1:2], null, s15, s2, v[0:1]
	s_mov_b32 s2, exec_lo
	v_cmpx_gt_i32_e64 s12, v1
	s_cbranch_execz .LBB0_7
; %bb.1:
	s_load_b256 s[4:11], s[0:1], 0x8
	v_lshlrev_b32_e32 v0, 3, v1
	v_mul_lo_u32 v1, v1, 10
	s_cmp_lt_i32 s13, 2
	s_delay_alu instid0(VALU_DEP_2) | instskip(NEXT) | instid1(VALU_DEP_2)
	v_ashrrev_i32_e32 v2, 31, v0
	v_ashrrev_i32_e32 v6, 31, v1
	s_waitcnt lgkmcnt(0)
	v_add_co_u32 v3, vcc_lo, s4, v0
	s_delay_alu instid0(VALU_DEP_3)
	v_add_co_ci_u32_e32 v4, vcc_lo, s5, v2, vcc_lo
	v_add_co_u32 v5, vcc_lo, s6, v1
	v_add_co_ci_u32_e32 v6, vcc_lo, s7, v6, vcc_lo
	global_load_b64 v[3:4], v[3:4], off
	s_load_b256 s[0:7], s[0:1], 0x28
	s_clause 0x1
	global_load_b64 v[7:8], v[5:6], off
	global_load_u16 v50, v[5:6], off offset:8
	v_add_co_u32 v0, vcc_lo, s8, v0
	s_mov_b32 s8, 2
	s_waitcnt vmcnt(2)
	v_lshrrev_b32_e32 v1, 8, v3
	v_lshrrev_b32_e32 v12, 16, v3
	;; [unrolled: 1-line block ×3, first 2 shown]
	s_waitcnt vmcnt(1)
	v_xor_b32_e32 v3, v7, v3
	v_lshrrev_b32_e32 v14, 8, v4
	v_lshrrev_b32_e32 v15, 16, v4
	v_lshrrev_b32_e32 v16, 24, v4
	v_xor_b32_e32 v4, v8, v4
	v_lshrrev_b32_e32 v11, 8, v8
	v_and_b32_e32 v22, 0xff, v3
	v_lshrrev_b32_e32 v9, 16, v8
	v_lshrrev_b32_e32 v52, 16, v7
	v_and_b32_e32 v24, 0xff, v4
	v_lshrrev_b64 v[5:6], 24, v[7:8]
	v_xor_b32_e32 v14, v11, v14
	s_waitcnt lgkmcnt(0)
	v_add_co_u32 v3, s12, s6, v22
	v_lshrrev_b32_e32 v51, 8, v7
	v_lshrrev_b32_e32 v10, 24, v8
	v_xor_b32_e32 v15, v9, v15
	v_xor_b32_e32 v6, v52, v12
	v_add_co_ci_u32_e64 v4, null, s7, 0, s12
	v_add_co_u32 v12, s12, s6, v24
	v_xor_b32_e32 v27, v5, v13
	v_add_co_ci_u32_e64 v13, null, s7, 0, s12
	v_and_b32_e32 v40, 0xff, v14
	v_add_co_u32 v14, s12, s0, v22
	v_xor_b32_e32 v1, v51, v1
	v_xor_b32_e32 v26, v10, v16
	v_and_b32_e32 v41, 0xff, v15
	v_add_co_ci_u32_e64 v15, null, s1, 0, s12
	v_add_co_u32 v16, s12, s0, v24
	s_delay_alu instid0(VALU_DEP_1) | instskip(SKIP_1) | instid1(VALU_DEP_1)
	v_add_co_ci_u32_e64 v17, null, s1, 0, s12
	v_add_co_u32 v18, s12, s2, v22
	v_add_co_ci_u32_e64 v19, null, s3, 0, s12
	v_add_co_u32 v20, s12, s2, v24
	v_and_b32_e32 v1, 0xff, v1
	v_add_co_ci_u32_e64 v21, null, s3, 0, s12
	v_add_co_u32 v22, s12, s4, v22
	v_and_b32_e32 v6, 0xff, v6
	v_add_co_ci_u32_e64 v23, null, s5, 0, s12
	v_add_co_u32 v24, s12, s4, v24
	s_delay_alu instid0(VALU_DEP_1)
	v_add_co_ci_u32_e64 v25, null, s5, 0, s12
	s_clause 0x5
	global_load_u8 v53, v26, s[0:1]
	global_load_u8 v54, v26, s[2:3]
	;; [unrolled: 1-line block ×4, first 2 shown]
	global_load_u8 v57, v[3:4], off
	global_load_u8 v58, v[12:13], off
	v_add_co_u32 v3, s12, s4, v1
	s_delay_alu instid0(VALU_DEP_1) | instskip(SKIP_4) | instid1(VALU_DEP_1)
	v_add_co_ci_u32_e64 v4, null, s5, 0, s12
	v_add_co_u32 v26, s12, s2, v6
	v_and_b32_e32 v48, 0xff, v27
	v_add_co_ci_u32_e64 v27, null, s3, 0, s12
	v_add_co_u32 v12, s12, s4, v40
	v_add_co_ci_u32_e64 v13, null, s5, 0, s12
	v_add_co_u32 v28, s12, s2, v41
	s_delay_alu instid0(VALU_DEP_1) | instskip(SKIP_4) | instid1(VALU_DEP_1)
	v_add_co_ci_u32_e64 v29, null, s3, 0, s12
	s_clause 0x1
	global_load_u8 v59, v[14:15], off
	global_load_u8 v60, v[16:17], off
	v_add_co_u32 v14, s12, s6, v1
	v_add_co_ci_u32_e64 v15, null, s7, 0, s12
	v_add_co_u32 v30, s12, s4, v6
	s_delay_alu instid0(VALU_DEP_1) | instskip(SKIP_1) | instid1(VALU_DEP_1)
	v_add_co_ci_u32_e64 v31, null, s5, 0, s12
	v_add_co_u32 v16, s12, s6, v40
	v_add_co_ci_u32_e64 v17, null, s7, 0, s12
	v_add_co_u32 v32, s12, s4, v41
	s_delay_alu instid0(VALU_DEP_1) | instskip(SKIP_4) | instid1(VALU_DEP_1)
	v_add_co_ci_u32_e64 v33, null, s5, 0, s12
	s_clause 0x1
	global_load_u8 v61, v[18:19], off
	global_load_u8 v62, v[20:21], off
	v_add_co_u32 v18, s12, s0, v1
	v_add_co_ci_u32_e64 v19, null, s1, 0, s12
	v_add_co_u32 v34, s12, s6, v6
	s_delay_alu instid0(VALU_DEP_1) | instskip(SKIP_1) | instid1(VALU_DEP_1)
	v_add_co_ci_u32_e64 v35, null, s7, 0, s12
	v_add_co_u32 v20, s12, s0, v40
	v_add_co_ci_u32_e64 v21, null, s1, 0, s12
	v_add_co_u32 v36, s12, s6, v41
	s_delay_alu instid0(VALU_DEP_1) | instskip(SKIP_2) | instid1(VALU_DEP_1)
	v_add_co_ci_u32_e64 v37, null, s7, 0, s12
	global_load_u8 v63, v[22:23], off
	v_add_co_u32 v22, s12, s2, v1
	v_add_co_ci_u32_e64 v23, null, s3, 0, s12
	v_add_co_u32 v38, s12, s0, v6
	s_delay_alu instid0(VALU_DEP_1) | instskip(SKIP_2) | instid1(VALU_DEP_1)
	v_add_co_ci_u32_e64 v39, null, s1, 0, s12
	global_load_u8 v6, v[24:25], off
	v_add_co_u32 v24, s12, s2, v40
	v_add_co_ci_u32_e64 v25, null, s3, 0, s12
	v_add_co_u32 v40, s12, s0, v41
	s_delay_alu instid0(VALU_DEP_1) | instskip(SKIP_1) | instid1(VALU_DEP_1)
	v_add_co_ci_u32_e64 v41, null, s1, 0, s12
	v_add_co_u32 v42, s12, s0, v48
	v_add_co_ci_u32_e64 v43, null, s1, 0, s12
	v_add_co_u32 v44, s12, s2, v48
	s_waitcnt vmcnt(12)
	v_lshrrev_b16 v1, 3, v50
	v_add_co_ci_u32_e64 v45, null, s3, 0, s12
	v_add_co_u32 v46, s12, s4, v48
	s_delay_alu instid0(VALU_DEP_1) | instskip(SKIP_1) | instid1(VALU_DEP_1)
	v_add_co_ci_u32_e64 v47, null, s5, 0, s12
	v_add_co_u32 v48, s12, s6, v48
	v_add_co_ci_u32_e64 v49, null, s7, 0, s12
	global_load_u8 v64, v[3:4], off
	global_load_u8 v26, v[26:27], off
	;; [unrolled: 1-line block ×15, first 2 shown]
	s_clause 0x1
	global_load_u8 v25, v[40:41], off
	global_load_u8 v27, v[42:43], off
	;; [unrolled: 1-line block ×5, first 2 shown]
	v_and_b32_e32 v1, 31, v1
	v_lshlrev_b16 v3, 5, v10
	v_lshlrev_b16 v33, 5, v8
	;; [unrolled: 1-line block ×3, first 2 shown]
	v_lshrrev_b16 v38, 3, v51
	v_lshrrev_b16 v35, 3, v11
	v_or_b32_e32 v31, v3, v1
	v_lshrrev_b16 v5, 3, v5
	v_lshlrev_b16 v34, 5, v50
	v_and_b32_e32 v38, 31, v38
	v_lshlrev_b16 v37, 5, v52
	v_lshrrev_b16 v1, 4, v31
	v_and_b32_e32 v35, 31, v35
	v_and_b32_e32 v5, 31, v5
	s_delay_alu instid0(VALU_DEP_3) | instskip(NEXT) | instid1(VALU_DEP_2)
	v_and_b32_e32 v1, 15, v1
	v_or_b32_e32 v5, v37, v5
	s_delay_alu instid0(VALU_DEP_2) | instskip(NEXT) | instid1(VALU_DEP_1)
	v_and_b32_e32 v1, 0xffff, v1
	v_add_co_u32 v3, s12, s10, v1
	s_delay_alu instid0(VALU_DEP_1)
	v_add_co_ci_u32_e64 v4, null, s11, 0, s12
	v_add_co_ci_u32_e32 v1, vcc_lo, s9, v2, vcc_lo
	v_lshrrev_b32_e32 v2, 8, v50
	global_load_u8 v32, v[3:4], off
	v_lshrrev_b16 v3, 3, v8
	v_lshrrev_b32_e32 v4, 19, v7
	v_lshlrev_b16 v8, 5, v7
	v_lshrrev_b16 v7, 3, v7
	v_lshlrev_b16 v39, 5, v2
	v_and_b32_e32 v36, 31, v3
	v_and_b32_e32 v3, 31, v4
	v_lshlrev_b16 v4, 5, v51
	v_and_b32_e32 v7, 31, v7
	v_lshrrev_b16 v40, 3, v2
	s_delay_alu instid0(VALU_DEP_3) | instskip(NEXT) | instid1(VALU_DEP_3)
	v_or_b32_e32 v2, v4, v3
	v_or_b32_e32 v3, v39, v7
	s_delay_alu instid0(VALU_DEP_3)
	v_and_b32_e32 v39, 31, v40
	v_or_b32_e32 v4, v41, v36
	s_waitcnt vmcnt(32)
	v_and_b32_e32 v7, 3, v53
	s_waitcnt vmcnt(31)
	v_and_b32_e32 v36, 3, v54
	;; [unrolled: 2-line block ×28, first 2 shown]
	v_or_b32_e32 v12, v12, v43
	v_or_b32_e32 v14, v14, v44
	;; [unrolled: 1-line block ×7, first 2 shown]
	s_waitcnt vmcnt(3)
	v_and_b32_e32 v28, 3, v28
	s_waitcnt vmcnt(2)
	v_and_b32_e32 v29, 3, v29
	;; [unrolled: 2-line block ×3, first 2 shown]
	v_or_b32_e32 v42, v49, v42
	v_or_b32_e32 v12, v12, v13
	;; [unrolled: 1-line block ×8, first 2 shown]
	v_and_b32_e32 v27, 3, v27
	v_or_b32_e32 v24, v42, v26
	v_or_b32_e32 v7, v12, v7
	;; [unrolled: 1-line block ×9, first 2 shown]
	v_lshlrev_b16 v6, 8, v14
	v_and_b32_e32 v20, 0xff, v15
	v_lshlrev_b16 v21, 8, v12
	v_and_b32_e32 v22, 0xff, v16
	v_lshlrev_b16 v7, 8, v7
	v_lshlrev_b16 v23, 8, v17
	v_and_b32_e32 v24, 0xff, v18
	v_or_b32_e32 v6, v20, v6
	v_or_b32_e32 v20, v22, v21
	v_or_b32_e32 v19, v19, v7
	v_or_b32_e32 v7, v8, v38
	v_or_b32_e32 v21, v24, v23
	v_and_b32_e32 v8, 0xffff, v6
	v_lshlrev_b32_e32 v20, 16, v20
	v_and_b32_e32 v19, 0xffff, v19
	v_and_b32_e32 v22, 15, v31
	v_lshlrev_b32_e32 v21, 16, v21
	v_or_b32_e32 v13, v33, v35
	v_or_b32_e32 v6, v34, v39
	;; [unrolled: 1-line block ×3, first 2 shown]
	s_waitcnt vmcnt(0)
	v_or_b32_e32 v8, v22, v32
	v_or_b32_e32 v19, v19, v21
	global_store_b64 v[0:1], v[19:20], off
	s_cbranch_scc1 .LBB0_5
; %bb.2:
	global_load_u16 v19, v[0:1], off
	v_lshrrev_b16 v20, 3, v9
	v_lshlrev_b16 v11, 5, v11
	v_lshrrev_b16 v10, 3, v10
	s_delay_alu instid0(VALU_DEP_3) | instskip(NEXT) | instid1(VALU_DEP_1)
	v_and_b32_e32 v20, 31, v20
	v_or_b32_e32 v11, v11, v20
	v_lshlrev_b16 v20, 5, v9
	s_delay_alu instid0(VALU_DEP_2) | instskip(NEXT) | instid1(VALU_DEP_2)
	v_xor_b32_e32 v9, 0xffffff80, v11
	v_or_b32_e32 v10, v20, v10
	s_waitcnt vmcnt(0)
	v_lshrrev_b16 v20, 8, v19
.LBB0_3:                                ; =>This Inner Loop Header: Depth=1
	v_mov_b32_e32 v11, v13
	s_delay_alu instid0(VALU_DEP_2) | instskip(NEXT) | instid1(VALU_DEP_3)
	v_xor_b32_e32 v13, v19, v8
	v_xor_b32_e32 v19, v20, v6
	;; [unrolled: 1-line block ×5, first 2 shown]
	v_and_b32_e32 v54, 0xff, v13
	v_and_b32_e32 v56, 0xff, v19
	v_xor_b32_e32 v15, v15, v2
	v_xor_b32_e32 v16, v16, v4
	v_and_b32_e32 v58, 0xff, v18
	v_xor_b32_e32 v26, v12, v11
	v_add_co_u32 v12, s9, s6, v54
	v_and_b32_e32 v60, 0xff, v17
	v_and_b32_e32 v64, 0xff, v14
	v_add_co_ci_u32_e64 v13, null, s7, 0, s9
	v_add_co_u32 v14, s9, s4, v56
	v_lshrrev_b16 v20, 3, v9
	v_and_b32_e32 v62, 0xff, v15
	v_and_b32_e32 v66, 0xff, v16
	v_add_co_ci_u32_e64 v15, null, s5, 0, s9
	v_add_co_u32 v16, s9, s2, v58
	s_delay_alu instid0(VALU_DEP_1) | instskip(SKIP_4) | instid1(VALU_DEP_1)
	v_add_co_ci_u32_e64 v17, null, s3, 0, s9
	v_add_co_u32 v18, s9, s0, v60
	v_and_b32_e32 v69, 31, v20
	v_add_co_ci_u32_e64 v19, null, s1, 0, s9
	v_add_co_u32 v20, s9, s6, v62
	v_add_co_ci_u32_e64 v21, null, s7, 0, s9
	v_add_co_u32 v22, s9, s4, v64
	s_delay_alu instid0(VALU_DEP_1) | instskip(SKIP_1) | instid1(VALU_DEP_1)
	v_add_co_ci_u32_e64 v23, null, s5, 0, s9
	v_add_co_u32 v24, s9, s2, v66
	v_add_co_ci_u32_e64 v25, null, s3, 0, s9
	v_and_b32_e32 v70, 0xff, v26
	v_add_co_u32 v26, s9, s0, v54
	s_delay_alu instid0(VALU_DEP_1) | instskip(SKIP_1) | instid1(VALU_DEP_1)
	v_add_co_ci_u32_e64 v27, null, s1, 0, s9
	v_add_co_u32 v28, s9, s6, v56
	v_add_co_ci_u32_e64 v29, null, s7, 0, s9
	v_add_co_u32 v30, s9, s4, v58
	s_delay_alu instid0(VALU_DEP_1) | instskip(SKIP_1) | instid1(VALU_DEP_1)
	v_add_co_ci_u32_e64 v31, null, s5, 0, s9
	v_add_co_u32 v32, s9, s2, v60
	v_add_co_ci_u32_e64 v33, null, s3, 0, s9
	;; [unrolled: 5-line block ×8, first 2 shown]
	v_add_co_u32 v58, s9, s0, v58
	v_lshlrev_b16 v68, 5, v11
	v_add_co_ci_u32_e64 v59, null, s1, 0, s9
	v_add_co_u32 v60, s9, s6, v60
	s_delay_alu instid0(VALU_DEP_1) | instskip(SKIP_1) | instid1(VALU_DEP_1)
	v_add_co_ci_u32_e64 v61, null, s7, 0, s9
	v_add_co_u32 v62, s9, s4, v62
	v_add_co_ci_u32_e64 v63, null, s5, 0, s9
	v_add_co_u32 v64, s9, s2, v64
	v_or_b32_e32 v68, v68, v69
	v_add_co_ci_u32_e64 v65, null, s3, 0, s9
	v_add_co_u32 v66, s9, s0, v66
	s_delay_alu instid0(VALU_DEP_1)
	v_add_co_ci_u32_e64 v67, null, s1, 0, s9
	global_load_u8 v69, v[12:13], off
	global_load_u8 v71, v[14:15], off
	;; [unrolled: 1-line block ×7, first 2 shown]
	v_add_co_u32 v12, s9, s0, v70
	s_delay_alu instid0(VALU_DEP_1)
	v_add_co_ci_u32_e64 v13, null, s1, 0, s9
	global_load_u8 v23, v[28:29], off
	global_load_u8 v24, v[30:31], off
	;; [unrolled: 1-line block ×6, first 2 shown]
	v_add_co_u32 v14, s9, s2, v70
	global_load_u8 v31, v[42:43], off
	global_load_u8 v32, v[44:45], off
	;; [unrolled: 1-line block ×6, first 2 shown]
	v_lshrrev_b16 v45, 4, v68
	v_add_co_ci_u32_e64 v15, null, s3, 0, s9
	v_add_co_u32 v16, s9, s4, v70
	s_delay_alu instid0(VALU_DEP_1)
	v_add_co_ci_u32_e64 v17, null, s5, 0, s9
	global_load_u8 v37, v[56:57], off
	global_load_u8 v38, v[58:59], off
	;; [unrolled: 1-line block ×5, first 2 shown]
	s_clause 0x2
	global_load_u8 v44, v[66:67], off
	global_load_u8 v46, v[12:13], off
	;; [unrolled: 1-line block ×3, first 2 shown]
	v_and_b32_e32 v12, 15, v45
	s_clause 0x1
	global_load_u8 v14, v[14:15], off
	global_load_u8 v15, v[40:41], off
	s_clause 0x1
	global_load_u8 v16, v[16:17], off
	global_load_u8 v17, v[54:55], off
	v_add_co_u32 v18, s9, s6, v70
	s_delay_alu instid0(VALU_DEP_1)
	v_add_co_ci_u32_e64 v19, null, s7, 0, s9
	v_and_b32_e32 v12, 0xffff, v12
	s_and_b32 s8, s8, 0xff
	v_lshlrev_b16 v40, 5, v3
	global_load_u8 v18, v[18:19], off
	v_lshrrev_b16 v3, 3, v3
	v_add_co_u32 v12, s9, s10, v12
	s_delay_alu instid0(VALU_DEP_1)
	v_add_co_ci_u32_e64 v13, null, s11, 0, s9
	s_lshl_b32 s9, s8, 2
	v_lshlrev_b16 v45, 5, v8
	v_lshrrev_b16 v8, 3, v8
	global_load_u8 v27, v[12:13], off
	v_lshlrev_b16 v13, 5, v2
	v_lshrrev_b16 v2, 3, v2
	v_xor_b32_e32 v5, s9, v5
	v_lshlrev_b16 v12, 5, v4
	v_lshrrev_b16 v4, 3, v4
	v_lshlrev_b16 v19, 5, v7
	v_lshrrev_b16 v7, 3, v7
	;; [unrolled: 2-line block ×4, first 2 shown]
	v_lshrrev_b16 v11, 3, v11
	v_and_b32_e32 v2, 31, v2
	v_and_b32_e32 v3, 31, v3
	;; [unrolled: 1-line block ×3, first 2 shown]
	v_lshrrev_b16 v50, 3, v5
	v_lshlrev_b16 v9, 5, v9
	v_and_b32_e32 v48, 31, v4
	v_and_b32_e32 v7, 31, v7
	;; [unrolled: 1-line block ×5, first 2 shown]
	v_or_b32_e32 v4, v19, v2
	v_or_b32_e32 v2, v41, v3
	;; [unrolled: 1-line block ×3, first 2 shown]
	v_and_b32_e32 v8, 31, v50
	v_lshlrev_b16 v49, 5, v5
	v_or_b32_e32 v5, v40, v7
	v_or_b32_e32 v7, v45, v6
	;; [unrolled: 1-line block ×5, first 2 shown]
	v_and_b32_e32 v11, 15, v68
	s_add_i32 s8, s8, 1
	v_or_b32_e32 v9, v49, v48
	s_and_b32 s9, s8, 0xff
	s_delay_alu instid0(SALU_CYCLE_1)
	s_cmp_le_u32 s9, s13
	s_waitcnt vmcnt(32)
	v_and_b32_e32 v8, 0xffffffc0, v69
	s_waitcnt vmcnt(31)
	v_and_b32_e32 v12, 48, v71
	;; [unrolled: 2-line block ×8, first 2 shown]
	v_or_b32_e32 v8, v12, v8
	s_waitcnt vmcnt(22)
	v_and_b32_e32 v28, 0xffffffc0, v28
	s_waitcnt vmcnt(21)
	v_and_b32_e32 v29, 48, v29
	;; [unrolled: 2-line block ×6, first 2 shown]
	v_or_b32_e32 v12, v21, v20
	v_and_b32_e32 v24, 12, v24
	s_waitcnt vmcnt(13)
	v_and_b32_e32 v37, 48, v37
	v_and_b32_e32 v32, 12, v32
	v_and_b32_e32 v36, 12, v36
	s_waitcnt vmcnt(10)
	v_and_b32_e32 v41, 0xffffffc0, v42
	s_waitcnt vmcnt(9)
	v_and_b32_e32 v42, 48, v43
	v_and_b32_e32 v38, 12, v38
	s_waitcnt vmcnt(6)
	v_and_b32_e32 v21, 0xffffffc0, v26
	v_or_b32_e32 v26, v29, v28
	s_waitcnt vmcnt(4)
	v_and_b32_e32 v15, 0xffffffc0, v15
	s_waitcnt vmcnt(2)
	v_and_b32_e32 v17, 0xffffffc0, v17
	v_and_b32_e32 v43, 12, v44
	v_or_b32_e32 v28, v35, v34
	v_or_b32_e32 v29, v42, v41
	;; [unrolled: 1-line block ×8, first 2 shown]
	v_and_b32_e32 v25, 3, v25
	v_and_b32_e32 v33, 3, v33
	;; [unrolled: 1-line block ×6, first 2 shown]
	s_waitcnt vmcnt(1)
	v_and_b32_e32 v18, 3, v18
	v_or_b32_e32 v23, v28, v36
	v_or_b32_e32 v28, v29, v43
	v_or_b32_e32 v19, v8, v40
	v_or_b32_e32 v8, v21, v24
	v_or_b32_e32 v15, v15, v32
	v_or_b32_e32 v21, v26, v38
	v_or_b32_e32 v20, v12, v20
	v_or_b32_e32 v17, v22, v14
	v_or_b32_e32 v14, v23, v16
	v_or_b32_e32 v12, v28, v18
	v_or_b32_e32 v18, v8, v25
	v_or_b32_e32 v15, v15, v33
	v_or_b32_e32 v16, v21, v39
	s_waitcnt vmcnt(0)
	v_or_b32_e32 v8, v27, v11
	s_cbranch_scc1 .LBB0_3
; %bb.4:
	v_lshlrev_b16 v9, 8, v14
	v_and_b32_e32 v10, 0xff, v15
	v_lshlrev_b16 v11, 8, v12
	v_and_b32_e32 v21, 0xff, v16
	;; [unrolled: 2-line block ×4, first 2 shown]
	v_or_b32_e32 v9, v10, v9
	v_or_b32_e32 v10, v21, v11
	;; [unrolled: 1-line block ×3, first 2 shown]
	s_delay_alu instid0(VALU_DEP_4) | instskip(NEXT) | instid1(VALU_DEP_4)
	v_or_b32_e32 v19, v23, v22
	v_and_b32_e32 v9, 0xffff, v9
	s_delay_alu instid0(VALU_DEP_4) | instskip(NEXT) | instid1(VALU_DEP_4)
	v_lshlrev_b32_e32 v10, 16, v10
	v_and_b32_e32 v11, 0xffff, v11
	s_delay_alu instid0(VALU_DEP_4) | instskip(NEXT) | instid1(VALU_DEP_3)
	v_lshlrev_b32_e32 v19, 16, v19
	v_or_b32_e32 v10, v9, v10
	s_delay_alu instid0(VALU_DEP_2)
	v_or_b32_e32 v9, v11, v19
	global_store_b64 v[0:1], v[9:10], off
.LBB0_5:
	s_cmp_lg_u32 s13, 31
	s_cbranch_scc1 .LBB0_7
; %bb.6:
	global_load_u16 v9, v[0:1], off
	v_xor_b32_e32 v3, v18, v3
	v_xor_b32_e32 v7, v17, v7
	;; [unrolled: 1-line block ×6, first 2 shown]
	v_lshlrev_b16 v7, 8, v7
	v_lshlrev_b16 v5, 8, v5
	v_and_b32_e32 v2, 0xff, v2
	v_and_b32_e32 v4, 0xff, v4
	;; [unrolled: 1-line block ×3, first 2 shown]
	s_delay_alu instid0(VALU_DEP_3) | instskip(NEXT) | instid1(VALU_DEP_2)
	v_or_b32_e32 v2, v2, v5
	v_or_b32_e32 v3, v3, v7
	s_delay_alu instid0(VALU_DEP_2) | instskip(SKIP_4) | instid1(VALU_DEP_3)
	v_and_b32_e32 v2, 0xffff, v2
	s_waitcnt vmcnt(0)
	v_lshrrev_b16 v10, 8, v9
	v_xor_b32_e32 v8, v9, v8
	v_lshlrev_b16 v9, 8, v11
	v_xor_b32_e32 v6, v10, v6
	s_delay_alu instid0(VALU_DEP_3) | instskip(NEXT) | instid1(VALU_DEP_3)
	v_and_b32_e32 v8, 0xff, v8
	v_or_b32_e32 v4, v4, v9
	s_delay_alu instid0(VALU_DEP_3) | instskip(NEXT) | instid1(VALU_DEP_2)
	v_lshlrev_b16 v6, 8, v6
	v_lshlrev_b32_e32 v4, 16, v4
	s_delay_alu instid0(VALU_DEP_2) | instskip(SKIP_1) | instid1(VALU_DEP_3)
	v_or_b32_e32 v5, v8, v6
	v_lshlrev_b32_e32 v6, 16, v3
	v_or_b32_e32 v3, v2, v4
	s_delay_alu instid0(VALU_DEP_3) | instskip(NEXT) | instid1(VALU_DEP_1)
	v_and_b32_e32 v5, 0xffff, v5
	v_or_b32_e32 v2, v5, v6
	global_store_b64 v[0:1], v[2:3], off
.LBB0_7:
	s_nop 0
	s_sendmsg sendmsg(MSG_DEALLOC_VGPRS)
	s_endpgm
	.section	.rodata,"a",@progbits
	.p2align	6, 0x0
	.amdhsa_kernel _Z7presentiiPKhS0_PhS0_S0_S0_S0_S0_
		.amdhsa_group_segment_fixed_size 0
		.amdhsa_private_segment_fixed_size 0
		.amdhsa_kernarg_size 328
		.amdhsa_user_sgpr_count 15
		.amdhsa_user_sgpr_dispatch_ptr 0
		.amdhsa_user_sgpr_queue_ptr 0
		.amdhsa_user_sgpr_kernarg_segment_ptr 1
		.amdhsa_user_sgpr_dispatch_id 0
		.amdhsa_user_sgpr_private_segment_size 0
		.amdhsa_wavefront_size32 1
		.amdhsa_uses_dynamic_stack 0
		.amdhsa_enable_private_segment 0
		.amdhsa_system_sgpr_workgroup_id_x 1
		.amdhsa_system_sgpr_workgroup_id_y 0
		.amdhsa_system_sgpr_workgroup_id_z 0
		.amdhsa_system_sgpr_workgroup_info 0
		.amdhsa_system_vgpr_workitem_id 0
		.amdhsa_next_free_vgpr 74
		.amdhsa_next_free_sgpr 16
		.amdhsa_reserve_vcc 1
		.amdhsa_float_round_mode_32 0
		.amdhsa_float_round_mode_16_64 0
		.amdhsa_float_denorm_mode_32 3
		.amdhsa_float_denorm_mode_16_64 3
		.amdhsa_dx10_clamp 1
		.amdhsa_ieee_mode 1
		.amdhsa_fp16_overflow 0
		.amdhsa_workgroup_processor_mode 1
		.amdhsa_memory_ordered 1
		.amdhsa_forward_progress 0
		.amdhsa_shared_vgpr_count 0
		.amdhsa_exception_fp_ieee_invalid_op 0
		.amdhsa_exception_fp_denorm_src 0
		.amdhsa_exception_fp_ieee_div_zero 0
		.amdhsa_exception_fp_ieee_overflow 0
		.amdhsa_exception_fp_ieee_underflow 0
		.amdhsa_exception_fp_ieee_inexact 0
		.amdhsa_exception_int_div_zero 0
	.end_amdhsa_kernel
	.text
.Lfunc_end0:
	.size	_Z7presentiiPKhS0_PhS0_S0_S0_S0_S0_, .Lfunc_end0-_Z7presentiiPKhS0_PhS0_S0_S0_S0_S0_
                                        ; -- End function
	.section	.AMDGPU.csdata,"",@progbits
; Kernel info:
; codeLenInByte = 3920
; NumSgprs: 18
; NumVgprs: 74
; ScratchSize: 0
; MemoryBound: 0
; FloatMode: 240
; IeeeMode: 1
; LDSByteSize: 0 bytes/workgroup (compile time only)
; SGPRBlocks: 2
; VGPRBlocks: 9
; NumSGPRsForWavesPerEU: 18
; NumVGPRsForWavesPerEU: 74
; Occupancy: 16
; WaveLimiterHint : 1
; COMPUTE_PGM_RSRC2:SCRATCH_EN: 0
; COMPUTE_PGM_RSRC2:USER_SGPR: 15
; COMPUTE_PGM_RSRC2:TRAP_HANDLER: 0
; COMPUTE_PGM_RSRC2:TGID_X_EN: 1
; COMPUTE_PGM_RSRC2:TGID_Y_EN: 0
; COMPUTE_PGM_RSRC2:TGID_Z_EN: 0
; COMPUTE_PGM_RSRC2:TIDIG_COMP_CNT: 0
	.text
	.p2alignl 7, 3214868480
	.fill 96, 4, 3214868480
	.type	__hip_cuid_3fbd436d266b5a85,@object ; @__hip_cuid_3fbd436d266b5a85
	.section	.bss,"aw",@nobits
	.globl	__hip_cuid_3fbd436d266b5a85
__hip_cuid_3fbd436d266b5a85:
	.byte	0                               ; 0x0
	.size	__hip_cuid_3fbd436d266b5a85, 1

	.ident	"AMD clang version 19.0.0git (https://github.com/RadeonOpenCompute/llvm-project roc-6.4.0 25133 c7fe45cf4b819c5991fe208aaa96edf142730f1d)"
	.section	".note.GNU-stack","",@progbits
	.addrsig
	.addrsig_sym __hip_cuid_3fbd436d266b5a85
	.amdgpu_metadata
---
amdhsa.kernels:
  - .args:
      - .offset:         0
        .size:           4
        .value_kind:     by_value
      - .offset:         4
        .size:           4
        .value_kind:     by_value
      - .actual_access:  read_only
        .address_space:  global
        .offset:         8
        .size:           8
        .value_kind:     global_buffer
      - .actual_access:  read_only
        .address_space:  global
        .offset:         16
        .size:           8
        .value_kind:     global_buffer
      - .address_space:  global
        .offset:         24
        .size:           8
        .value_kind:     global_buffer
      - .actual_access:  read_only
        .address_space:  global
        .offset:         32
        .size:           8
        .value_kind:     global_buffer
      - .actual_access:  read_only
        .address_space:  global
        .offset:         40
        .size:           8
        .value_kind:     global_buffer
      - .actual_access:  read_only
        .address_space:  global
        .offset:         48
        .size:           8
        .value_kind:     global_buffer
      - .actual_access:  read_only
        .address_space:  global
        .offset:         56
        .size:           8
        .value_kind:     global_buffer
      - .actual_access:  read_only
        .address_space:  global
        .offset:         64
        .size:           8
        .value_kind:     global_buffer
      - .offset:         72
        .size:           4
        .value_kind:     hidden_block_count_x
      - .offset:         76
        .size:           4
        .value_kind:     hidden_block_count_y
      - .offset:         80
        .size:           4
        .value_kind:     hidden_block_count_z
      - .offset:         84
        .size:           2
        .value_kind:     hidden_group_size_x
      - .offset:         86
        .size:           2
        .value_kind:     hidden_group_size_y
      - .offset:         88
        .size:           2
        .value_kind:     hidden_group_size_z
      - .offset:         90
        .size:           2
        .value_kind:     hidden_remainder_x
      - .offset:         92
        .size:           2
        .value_kind:     hidden_remainder_y
      - .offset:         94
        .size:           2
        .value_kind:     hidden_remainder_z
      - .offset:         112
        .size:           8
        .value_kind:     hidden_global_offset_x
      - .offset:         120
        .size:           8
        .value_kind:     hidden_global_offset_y
      - .offset:         128
        .size:           8
        .value_kind:     hidden_global_offset_z
      - .offset:         136
        .size:           2
        .value_kind:     hidden_grid_dims
    .group_segment_fixed_size: 0
    .kernarg_segment_align: 8
    .kernarg_segment_size: 328
    .language:       OpenCL C
    .language_version:
      - 2
      - 0
    .max_flat_workgroup_size: 1024
    .name:           _Z7presentiiPKhS0_PhS0_S0_S0_S0_S0_
    .private_segment_fixed_size: 0
    .sgpr_count:     18
    .sgpr_spill_count: 0
    .symbol:         _Z7presentiiPKhS0_PhS0_S0_S0_S0_S0_.kd
    .uniform_work_group_size: 1
    .uses_dynamic_stack: false
    .vgpr_count:     74
    .vgpr_spill_count: 0
    .wavefront_size: 32
    .workgroup_processor_mode: 1
amdhsa.target:   amdgcn-amd-amdhsa--gfx1100
amdhsa.version:
  - 1
  - 2
...

	.end_amdgpu_metadata
